;; amdgpu-corpus repo=ROCm/aiter kind=harvested arch=n/a opt=n/a

/root/src/amdgpu-assembly/repos/ROCm__aiter/hsa/gfx942/topksoftmax/topksoftmax_4x128x4_bf16.co:	file format elf64-amdgpu

Disassembly of section .text:

0000000000001c00 <_ZN5aiter24topksoftmax_4x128x4_bf16E>:
	s_and_b32 s1, s1, 0xffff                                   // 000000001C00: 8601FF01 0000FFFF
	s_load_dwordx2 s[4:5], s[0:1], 0x0                         // 000000001C08: C0060100 00000000
	s_load_dwordx2 s[8:9], s[0:1], 0x10                        // 000000001C10: C0060200 00000010
	s_load_dwordx2 s[12:13], s[0:1], 0x20                      // 000000001C18: C0060300 00000020
	s_load_dword s16, s[0:1], 0x30                             // 000000001C20: C0020400 00000030
	s_load_dword s17, s[0:1], 0x40                             // 000000001C28: C0020440 00000040
	s_load_dword s18, s[0:1], 0x50                             // 000000001C30: C0020480 00000050
	s_load_dword s42, s[0:1], 0x60                             // 000000001C38: C0020A80 00000060
	s_load_dword s43, s[0:1], 0x70                             // 000000001C40: C0020AC0 00000070
	v_lshrrev_b32_e32 v1, 10, v0                               // 000000001C48: 2002008A
	v_lshrrev_b32_e32 v2, 10, v1                               // 000000001C4C: 2004028A
	v_and_b32_e32 v2, 0x3ff, v2                                // 000000001C50: 260404FF 000003FF
	v_and_b32_e32 v1, 0x3ff, v1                                // 000000001C58: 260202FF 000003FF
	v_and_b32_e32 v0, 0x3ff, v0                                // 000000001C60: 260000FF 000003FF
	v_lshrrev_b32_e32 v3, 6, v0                                // 000000001C68: 20060086
	v_and_b32_e32 v0, 63, v0                                   // 000000001C6C: 260000BF
	s_mov_b32 s19, s2                                          // 000000001C70: BE930002
	v_readfirstlane_b32 s40, v3                                // 000000001C74: 7E500503
	s_waitcnt lgkmcnt(0)                                       // 000000001C78: BF8CC07F
	s_mov_b32 s6, -16                                          // 000000001C7C: BE8600D0
	s_mov_b32 s10, -16                                         // 000000001C80: BE8A00D0
	s_mov_b32 s14, -16                                         // 000000001C84: BE8E00D0
	s_mov_b32 s7, 0x20000                                      // 000000001C88: BE8700FF 00020000
	s_mov_b32 s11, 0x20000                                     // 000000001C90: BE8B00FF 00020000
	s_mov_b32 s15, 0x20000                                     // 000000001C98: BE8F00FF 00020000
	s_and_b32 s5, s5, 0xffff                                   // 000000001CA0: 8605FF05 0000FFFF
	s_and_b32 s9, s9, 0xffff                                   // 000000001CA8: 8609FF09 0000FFFF
	s_and_b32 s13, s13, 0xffff                                 // 000000001CB0: 860DFF0D 0000FFFF
	s_or_b32 s5, s5, 0x40000                                   // 000000001CB8: 8705FF05 00040000
	s_or_b32 s9, s9, 0x40000                                   // 000000001CC0: 8709FF09 00040000
	s_or_b32 s13, s13, 0x40000                                 // 000000001CC8: 870DFF0D 00040000
	s_mul_i32 s20, s16, s17                                    // 000000001CD0: 92141110
	s_mul_i32 s20, s20, 2                                      // 000000001CD4: 92148214
	s_mov_b32 s14, s20                                         // 000000001CD8: BE8E0014
	v_lshlrev_b32_e32 v8, 1, v0                                // 000000001CDC: 24100081
	s_mul_i32 s20, s17, 2                                      // 000000001CE0: 92148211
	s_mul_i32 s21, s19, 4                                      // 000000001CE4: 92158413
	s_add_i32 s21, s21, s40                                    // 000000001CE8: 81152815
	s_mul_i32 s20, s20, s21                                    // 000000001CEC: 92141514
	v_add_u32_e32 v8, s20, v8                                  // 000000001CF0: 68101014
	buffer_load_short_d16 v11, v8, s[12:15], 0 offen           // 000000001CF4: E0901000 80030B08
	buffer_load_short_d16 v12, v8, s[12:15], 0 offen offset:128// 000000001CFC: E0901080 80030C08
	v_mov_b32_e32 v15, 0                                       // 000000001D04: 7E1E0280
	v_mov_b32_e32 v16, 0                                       // 000000001D08: 7E200280
	v_mov_b32_e32 v17, 0                                       // 000000001D0C: 7E220280
	v_mov_b32_e32 v18, 0                                       // 000000001D10: 7E240280
	v_mov_b32_e32 v13, 0                                       // 000000001D14: 7E1A0280
	v_mov_b32_e32 v14, 0                                       // 000000001D18: 7E1C0280
	v_mov_b32_e32 v19, 0                                       // 000000001D1C: 7E260280
	s_mov_b32 s18, 4                                           // 000000001D20: BE920084
	v_lshlrev_b32_e32 v9, 2, v0                                // 000000001D24: 24120082
	s_mov_b32 s20, s43                                         // 000000001D28: BE94002B
	s_mul_i32 s21, s19, 4                                      // 000000001D2C: 92158413
	s_add_i32 s21, s21, s40                                    // 000000001D30: 81152815
	s_mul_i32 s20, s20, s21                                    // 000000001D34: 92141514
	v_add_u32_e32 v9, s20, v9                                  // 000000001D38: 68121214
	v_mov_b32_e32 v10, v9                                      // 000000001D3C: 7E140309
	s_mul_i32 s20, s16, s43                                    // 000000001D40: 92142B10
	s_mov_b32 s6, s20                                          // 000000001D44: BE860014
	s_mov_b32 s10, s20                                         // 000000001D48: BE8A0014
	s_mov_b32 s41, 0x3fb8aa3b                                  // 000000001D4C: BEA900FF 3FB8AA3B
	s_mov_b32 s32, 0                                           // 000000001D54: BEA00080
	s_mov_b32 s36, 1                                           // 000000001D58: BEA40081
	s_mov_b32 s33, 0                                           // 000000001D5C: BEA10080
	s_mov_b32 s37, 1                                           // 000000001D60: BEA50081
	s_mov_b32 s34, 0                                           // 000000001D64: BEA20080
	s_mov_b32 s38, 1                                           // 000000001D68: BEA60081
	s_mov_b32 s35, 0                                           // 000000001D6C: BEA30080
	s_mov_b32 s39, 1                                           // 000000001D70: BEA70081
	s_waitcnt vmcnt(0) expcnt(0) lgkmcnt(0)                    // 000000001D74: BF8C0000
	v_lshlrev_b32_e32 v11, 16, v11                             // 000000001D78: 24161690
	v_lshlrev_b32_e32 v12, 16, v12                             // 000000001D7C: 24181890
	v_mul_f32_e64 v11, v11, s41                                // 000000001D80: D105000B 0000530B
	v_exp_f32_e32 v11, v11                                     // 000000001D88: 7E16410B
	v_mul_f32_e64 v12, v12, s41                                // 000000001D8C: D105000C 0000530C
	v_exp_f32_e32 v12, v12                                     // 000000001D94: 7E18410C
	s_nop 0                                                    // 000000001D98: BF800000
	v_add_f32_e32 v15, v15, v11                                // 000000001D9C: 021E170F
	v_add_f32_e32 v15, v15, v12                                // 000000001DA0: 021E190F
	s_nop 1                                                    // 000000001DA4: BF800001
	v_add_f32_dpp v4, v15, v15 quad_perm:[1,0,3,2] row_mask:0xf bank_mask:0xf// 000000001DA8: 02081EFA FF00B10F
	s_nop 1                                                    // 000000001DB0: BF800001
	v_add_f32_dpp v4, v4, v4 quad_perm:[2,3,0,1] row_mask:0xf bank_mask:0xf// 000000001DB4: 020808FA FF004E04
	s_nop 1                                                    // 000000001DBC: BF800001
	v_add_f32_dpp v4, v4, v4 row_shr:4 row_mask:0xf bank_mask:0xf// 000000001DC0: 020808FA FF011404
	s_nop 1                                                    // 000000001DC8: BF800001
	v_add_f32_dpp v4, v4, v4 row_shr:8 row_mask:0xf bank_mask:0xf// 000000001DCC: 020808FA FF011804
	s_nop 1                                                    // 000000001DD4: BF800001
	v_add_f32_dpp v4, v4, v4 row_bcast:15 row_mask:0xf bank_mask:0xf// 000000001DD8: 020808FA FF014204
	s_nop 1                                                    // 000000001DE0: BF800001
	v_add_f32_dpp v4, v4, v4 row_bcast:31 row_mask:0xf bank_mask:0xf// 000000001DE4: 020808FA FF014304
	s_nop 0                                                    // 000000001DEC: BF800000
	v_readlane_b32 s20, v4, 63                                 // 000000001DF0: D2890014 00017F04
	v_mov_b32_e32 v16, s20                                     // 000000001DF8: 7E200214
	v_rcp_f32_e32 v15, v16                                     // 000000001DFC: 7E1E4510
	s_nop 0                                                    // 000000001E00: BF800000
	v_mul_f32_e32 v11, v11, v15                                // 000000001E04: 0A161F0B
	v_mul_f32_e32 v12, v12, v15                                // 000000001E08: 0A181F0C
	s_cmp_eq_u32 s42, 0                                        // 000000001E0C: BF06802A
	s_cbranch_scc0 label_0157                                  // 000000001E10: BF8400D2
	v_max_f32_e32 v17, v11, v12                                // 000000001E14: 1622190B
	s_nop 1                                                    // 000000001E18: BF800001
	v_max_f32_dpp v4, v17, v17 quad_perm:[1,0,3,2] row_mask:0xf bank_mask:0xf// 000000001E1C: 160822FA FF00B111
	s_nop 1                                                    // 000000001E24: BF800001
	v_max_f32_dpp v4, v4, v4 quad_perm:[2,3,0,1] row_mask:0xf bank_mask:0xf// 000000001E28: 160808FA FF004E04
	s_nop 1                                                    // 000000001E30: BF800001
	v_max_f32_dpp v4, v4, v4 row_shr:4 row_mask:0xf bank_mask:0xf// 000000001E34: 160808FA FF011404
	s_nop 1                                                    // 000000001E3C: BF800001
	v_max_f32_dpp v4, v4, v4 row_shr:8 row_mask:0xf bank_mask:0xf// 000000001E40: 160808FA FF011804
	s_nop 1                                                    // 000000001E48: BF800001
	v_max_f32_dpp v4, v4, v4 row_bcast:15 row_mask:0xf bank_mask:0xf// 000000001E4C: 160808FA FF014204
	s_nop 1                                                    // 000000001E54: BF800001
	v_max_f32_dpp v4, v4, v4 row_bcast:31 row_mask:0xf bank_mask:0xf// 000000001E58: 160808FA FF014304
	s_nop 0                                                    // 000000001E60: BF800000
	v_readlane_b32 s20, v4, 63                                 // 000000001E64: D2890014 00017F04
	v_mov_b32_e32 v17, s20                                     // 000000001E6C: 7E220214
	v_cmp_eq_f32_e64 s[24:25], v17, v11                        // 000000001E70: D0420018 00021711
	v_cmp_eq_f32_e64 s[26:27], v17, v12                        // 000000001E78: D042001A 00021911
	s_ff1_i32_b64 s28, s[24:25]                                // 000000001E80: BE9C1118
	s_ff1_i32_b64 s29, s[26:27]                                // 000000001E84: BE9D111A
	v_readlane_b32 s20, v17, 0                                 // 000000001E88: D2890014 00010111
	v_writelane_b32 v14, s20, 0                                // 000000001E90: D28A000E 00010014
	s_mov_b32 s22, s28                                         // 000000001E98: BE96001C
	s_cmp_eq_u32 s28, -1                                       // 000000001E9C: BF06C11C
	s_cselect_b32 s21, 1, 0                                    // 000000001EA0: 85158081
	s_cbranch_scc0 label_00B0                                  // 000000001EA4: BF840006
	s_add_u32 s32, s21, s32                                    // 000000001EA8: 80202015
	s_mov_b32 s22, s29                                         // 000000001EAC: BE96001D
	s_cmp_eq_u32 s29, -1                                       // 000000001EB0: BF06C11D
	s_cselect_b32 s21, 1, 0                                    // 000000001EB4: 85158081
	s_cbranch_scc0 label_00B0                                  // 000000001EB8: BF840001
	s_add_u32 s32, s21, s32                                    // 000000001EBC: 80202015

0000000000001ec0 <label_00B0>:
	s_set_gpr_idx_on s32, gpr_idx(DST)                         // 000000001EC0: BF110820
	v_writelane_b32 v11, 0, s22                                // 000000001EC4: D28A000B 00002C80
	s_set_gpr_idx_off                                          // 000000001ECC: BF9C0000
	s_mul_i32 s32, 64, s32                                     // 000000001ED0: 922020C0
	s_add_u32 s32, s22, s32                                    // 000000001ED4: 80202016
	v_writelane_b32 v13, s32, 0                                // 000000001ED8: D28A000D 00010020
	v_max_f32_e32 v17, v11, v12                                // 000000001EE0: 1622190B
	s_nop 1                                                    // 000000001EE4: BF800001
	v_max_f32_dpp v4, v17, v17 quad_perm:[1,0,3,2] row_mask:0xf bank_mask:0xf// 000000001EE8: 160822FA FF00B111
	s_nop 1                                                    // 000000001EF0: BF800001
	v_max_f32_dpp v4, v4, v4 quad_perm:[2,3,0,1] row_mask:0xf bank_mask:0xf// 000000001EF4: 160808FA FF004E04
	s_nop 1                                                    // 000000001EFC: BF800001
	v_max_f32_dpp v4, v4, v4 row_shr:4 row_mask:0xf bank_mask:0xf// 000000001F00: 160808FA FF011404
	s_nop 1                                                    // 000000001F08: BF800001
	v_max_f32_dpp v4, v4, v4 row_shr:8 row_mask:0xf bank_mask:0xf// 000000001F0C: 160808FA FF011804
	s_nop 1                                                    // 000000001F14: BF800001
	v_max_f32_dpp v4, v4, v4 row_bcast:15 row_mask:0xf bank_mask:0xf// 000000001F18: 160808FA FF014204
	s_nop 1                                                    // 000000001F20: BF800001
	v_max_f32_dpp v4, v4, v4 row_bcast:31 row_mask:0xf bank_mask:0xf// 000000001F24: 160808FA FF014304
	s_nop 0                                                    // 000000001F2C: BF800000
	v_readlane_b32 s20, v4, 63                                 // 000000001F30: D2890014 00017F04
	v_mov_b32_e32 v17, s20                                     // 000000001F38: 7E220214
	v_cmp_eq_f32_e64 s[24:25], v17, v11                        // 000000001F3C: D0420018 00021711
	v_cmp_eq_f32_e64 s[26:27], v17, v12                        // 000000001F44: D042001A 00021911
	s_ff1_i32_b64 s28, s[24:25]                                // 000000001F4C: BE9C1118
	s_ff1_i32_b64 s29, s[26:27]                                // 000000001F50: BE9D111A
	v_readlane_b32 s20, v17, 0                                 // 000000001F54: D2890014 00010111
	v_writelane_b32 v14, s20, 1                                // 000000001F5C: D28A000E 00010214
	s_mov_b32 s22, s28                                         // 000000001F64: BE96001C
	s_cmp_eq_u32 s28, -1                                       // 000000001F68: BF06C11C
	s_cselect_b32 s21, 1, 0                                    // 000000001F6C: 85158081
	s_cbranch_scc0 label_00E3                                  // 000000001F70: BF840006
	s_add_u32 s33, s21, s33                                    // 000000001F74: 80212115
	s_mov_b32 s22, s29                                         // 000000001F78: BE96001D
	s_cmp_eq_u32 s29, -1                                       // 000000001F7C: BF06C11D
	s_cselect_b32 s21, 1, 0                                    // 000000001F80: 85158081
	s_cbranch_scc0 label_00E3                                  // 000000001F84: BF840001
	s_add_u32 s33, s21, s33                                    // 000000001F88: 80212115

0000000000001f8c <label_00E3>:
	s_set_gpr_idx_on s33, gpr_idx(DST)                         // 000000001F8C: BF110821
	v_writelane_b32 v11, 0, s22                                // 000000001F90: D28A000B 00002C80
	s_set_gpr_idx_off                                          // 000000001F98: BF9C0000
	s_mul_i32 s33, 64, s33                                     // 000000001F9C: 922121C0
	s_add_u32 s33, s22, s33                                    // 000000001FA0: 80212116
	v_writelane_b32 v13, s33, 1                                // 000000001FA4: D28A000D 00010221
	v_max_f32_e32 v17, v11, v12                                // 000000001FAC: 1622190B
	s_nop 1                                                    // 000000001FB0: BF800001
	v_max_f32_dpp v4, v17, v17 quad_perm:[1,0,3,2] row_mask:0xf bank_mask:0xf// 000000001FB4: 160822FA FF00B111
	s_nop 1                                                    // 000000001FBC: BF800001
	v_max_f32_dpp v4, v4, v4 quad_perm:[2,3,0,1] row_mask:0xf bank_mask:0xf// 000000001FC0: 160808FA FF004E04
	s_nop 1                                                    // 000000001FC8: BF800001
	v_max_f32_dpp v4, v4, v4 row_shr:4 row_mask:0xf bank_mask:0xf// 000000001FCC: 160808FA FF011404
	s_nop 1                                                    // 000000001FD4: BF800001
	v_max_f32_dpp v4, v4, v4 row_shr:8 row_mask:0xf bank_mask:0xf// 000000001FD8: 160808FA FF011804
	s_nop 1                                                    // 000000001FE0: BF800001
	v_max_f32_dpp v4, v4, v4 row_bcast:15 row_mask:0xf bank_mask:0xf// 000000001FE4: 160808FA FF014204
	s_nop 1                                                    // 000000001FEC: BF800001
	v_max_f32_dpp v4, v4, v4 row_bcast:31 row_mask:0xf bank_mask:0xf// 000000001FF0: 160808FA FF014304
	s_nop 0                                                    // 000000001FF8: BF800000
	v_readlane_b32 s20, v4, 63                                 // 000000001FFC: D2890014 00017F04
	v_mov_b32_e32 v17, s20                                     // 000000002004: 7E220214
	v_cmp_eq_f32_e64 s[24:25], v17, v11                        // 000000002008: D0420018 00021711
	v_cmp_eq_f32_e64 s[26:27], v17, v12                        // 000000002010: D042001A 00021911
	s_ff1_i32_b64 s28, s[24:25]                                // 000000002018: BE9C1118
	s_ff1_i32_b64 s29, s[26:27]                                // 00000000201C: BE9D111A
	v_readlane_b32 s20, v17, 0                                 // 000000002020: D2890014 00010111
	v_writelane_b32 v14, s20, 2                                // 000000002028: D28A000E 00010414
	s_mov_b32 s22, s28                                         // 000000002030: BE96001C
	s_cmp_eq_u32 s28, -1                                       // 000000002034: BF06C11C
	s_cselect_b32 s21, 1, 0                                    // 000000002038: 85158081
	s_cbranch_scc0 label_0116                                  // 00000000203C: BF840006
	s_add_u32 s34, s21, s34                                    // 000000002040: 80222215
	s_mov_b32 s22, s29                                         // 000000002044: BE96001D
	s_cmp_eq_u32 s29, -1                                       // 000000002048: BF06C11D
	s_cselect_b32 s21, 1, 0                                    // 00000000204C: 85158081
	s_cbranch_scc0 label_0116                                  // 000000002050: BF840001
	s_add_u32 s34, s21, s34                                    // 000000002054: 80222215

0000000000002058 <label_0116>:
	s_set_gpr_idx_on s34, gpr_idx(DST)                         // 000000002058: BF110822
	v_writelane_b32 v11, 0, s22                                // 00000000205C: D28A000B 00002C80
	s_set_gpr_idx_off                                          // 000000002064: BF9C0000
	s_mul_i32 s34, 64, s34                                     // 000000002068: 922222C0
	s_add_u32 s34, s22, s34                                    // 00000000206C: 80222216
	v_writelane_b32 v13, s34, 2                                // 000000002070: D28A000D 00010422
	v_max_f32_e32 v17, v11, v12                                // 000000002078: 1622190B
	s_nop 1                                                    // 00000000207C: BF800001
	v_max_f32_dpp v4, v17, v17 quad_perm:[1,0,3,2] row_mask:0xf bank_mask:0xf// 000000002080: 160822FA FF00B111
	s_nop 1                                                    // 000000002088: BF800001
	v_max_f32_dpp v4, v4, v4 quad_perm:[2,3,0,1] row_mask:0xf bank_mask:0xf// 00000000208C: 160808FA FF004E04
	s_nop 1                                                    // 000000002094: BF800001
	v_max_f32_dpp v4, v4, v4 row_shr:4 row_mask:0xf bank_mask:0xf// 000000002098: 160808FA FF011404
	s_nop 1                                                    // 0000000020A0: BF800001
	v_max_f32_dpp v4, v4, v4 row_shr:8 row_mask:0xf bank_mask:0xf// 0000000020A4: 160808FA FF011804
	s_nop 1                                                    // 0000000020AC: BF800001
	v_max_f32_dpp v4, v4, v4 row_bcast:15 row_mask:0xf bank_mask:0xf// 0000000020B0: 160808FA FF014204
	s_nop 1                                                    // 0000000020B8: BF800001
	v_max_f32_dpp v4, v4, v4 row_bcast:31 row_mask:0xf bank_mask:0xf// 0000000020BC: 160808FA FF014304
	s_nop 0                                                    // 0000000020C4: BF800000
	v_readlane_b32 s20, v4, 63                                 // 0000000020C8: D2890014 00017F04
	v_mov_b32_e32 v17, s20                                     // 0000000020D0: 7E220214
	v_cmp_eq_f32_e64 s[24:25], v17, v11                        // 0000000020D4: D0420018 00021711
	v_cmp_eq_f32_e64 s[26:27], v17, v12                        // 0000000020DC: D042001A 00021911
	s_ff1_i32_b64 s28, s[24:25]                                // 0000000020E4: BE9C1118
	s_ff1_i32_b64 s29, s[26:27]                                // 0000000020E8: BE9D111A
	v_readlane_b32 s20, v17, 0                                 // 0000000020EC: D2890014 00010111
	v_writelane_b32 v14, s20, 3                                // 0000000020F4: D28A000E 00010614
	s_mov_b32 s22, s28                                         // 0000000020FC: BE96001C
	s_cmp_eq_u32 s28, -1                                       // 000000002100: BF06C11C
	s_cselect_b32 s21, 1, 0                                    // 000000002104: 85158081
	s_cbranch_scc0 label_0149                                  // 000000002108: BF840006
	s_add_u32 s35, s21, s35                                    // 00000000210C: 80232315
	s_mov_b32 s22, s29                                         // 000000002110: BE96001D
	s_cmp_eq_u32 s29, -1                                       // 000000002114: BF06C11D
	s_cselect_b32 s21, 1, 0                                    // 000000002118: 85158081
	s_cbranch_scc0 label_0149                                  // 00000000211C: BF840001
	s_add_u32 s35, s21, s35                                    // 000000002120: 80232315

0000000000002124 <label_0149>:
	s_set_gpr_idx_on s35, gpr_idx(DST)                         // 000000002124: BF110823
	v_writelane_b32 v11, 0, s22                                // 000000002128: D28A000B 00002C80
	s_set_gpr_idx_off                                          // 000000002130: BF9C0000
	s_mul_i32 s35, 64, s35                                     // 000000002134: 922323C0
	s_add_u32 s35, s22, s35                                    // 000000002138: 80232316
	v_writelane_b32 v13, s35, 3                                // 00000000213C: D28A000D 00010623
	s_bfm_b64 exec, s18, 0                                     // 000000002144: 91FE8012
	buffer_store_dword v13, v9, s[4:7], 0 offen                // 000000002148: E0701000 80010D09
	buffer_store_dword v14, v10, s[8:11], 0 offen              // 000000002150: E0701000 80020E0A
	s_branch label_022F                                        // 000000002158: BF8200D8

000000000000215c <label_0157>:
	v_max_f32_e32 v17, v11, v12                                // 00000000215C: 1622190B
	s_nop 1                                                    // 000000002160: BF800001
	v_max_f32_dpp v4, v17, v17 quad_perm:[1,0,3,2] row_mask:0xf bank_mask:0xf// 000000002164: 160822FA FF00B111
	s_nop 1                                                    // 00000000216C: BF800001
	v_max_f32_dpp v4, v4, v4 quad_perm:[2,3,0,1] row_mask:0xf bank_mask:0xf// 000000002170: 160808FA FF004E04
	s_nop 1                                                    // 000000002178: BF800001
	v_max_f32_dpp v4, v4, v4 row_shr:4 row_mask:0xf bank_mask:0xf// 00000000217C: 160808FA FF011404
	s_nop 1                                                    // 000000002184: BF800001
	v_max_f32_dpp v4, v4, v4 row_shr:8 row_mask:0xf bank_mask:0xf// 000000002188: 160808FA FF011804
	s_nop 1                                                    // 000000002190: BF800001
	v_max_f32_dpp v4, v4, v4 row_bcast:15 row_mask:0xf bank_mask:0xf// 000000002194: 160808FA FF014204
	s_nop 1                                                    // 00000000219C: BF800001
	v_max_f32_dpp v4, v4, v4 row_bcast:31 row_mask:0xf bank_mask:0xf// 0000000021A0: 160808FA FF014304
	s_nop 0                                                    // 0000000021A8: BF800000
	v_readlane_b32 s20, v4, 63                                 // 0000000021AC: D2890014 00017F04
	v_mov_b32_e32 v17, s20                                     // 0000000021B4: 7E220214
	v_add_f32_e32 v19, v19, v17                                // 0000000021B8: 02262313
	v_cmp_eq_f32_e64 s[24:25], v17, v11                        // 0000000021BC: D0420018 00021711
	v_cmp_eq_f32_e64 s[26:27], v17, v12                        // 0000000021C4: D042001A 00021911
	s_ff1_i32_b64 s28, s[24:25]                                // 0000000021CC: BE9C1118
	s_ff1_i32_b64 s29, s[26:27]                                // 0000000021D0: BE9D111A
	v_readlane_b32 s20, v17, 0                                 // 0000000021D4: D2890014 00010111
	v_writelane_b32 v14, s20, 0                                // 0000000021DC: D28A000E 00010014
	s_mov_b32 s22, s28                                         // 0000000021E4: BE96001C
	s_cmp_eq_u32 s28, -1                                       // 0000000021E8: BF06C11C
	s_cselect_b32 s21, 1, 0                                    // 0000000021EC: 85158081
	s_cbranch_scc0 label_0183                                  // 0000000021F0: BF840006
	s_add_u32 s32, s21, s32                                    // 0000000021F4: 80202015
	s_mov_b32 s22, s29                                         // 0000000021F8: BE96001D
	s_cmp_eq_u32 s29, -1                                       // 0000000021FC: BF06C11D
	s_cselect_b32 s21, 1, 0                                    // 000000002200: 85158081
	s_cbranch_scc0 label_0183                                  // 000000002204: BF840001
	s_add_u32 s32, s21, s32                                    // 000000002208: 80202015

000000000000220c <label_0183>:
	s_set_gpr_idx_on s32, gpr_idx(DST)                         // 00000000220C: BF110820
	v_writelane_b32 v11, 0, s22                                // 000000002210: D28A000B 00002C80
	s_set_gpr_idx_off                                          // 000000002218: BF9C0000
	s_mul_i32 s32, 64, s32                                     // 00000000221C: 922020C0
	s_add_u32 s32, s22, s32                                    // 000000002220: 80202016
	v_writelane_b32 v13, s32, 0                                // 000000002224: D28A000D 00010020
	v_max_f32_e32 v17, v11, v12                                // 00000000222C: 1622190B
	s_nop 1                                                    // 000000002230: BF800001
	v_max_f32_dpp v4, v17, v17 quad_perm:[1,0,3,2] row_mask:0xf bank_mask:0xf// 000000002234: 160822FA FF00B111
	s_nop 1                                                    // 00000000223C: BF800001
	v_max_f32_dpp v4, v4, v4 quad_perm:[2,3,0,1] row_mask:0xf bank_mask:0xf// 000000002240: 160808FA FF004E04
	s_nop 1                                                    // 000000002248: BF800001
	v_max_f32_dpp v4, v4, v4 row_shr:4 row_mask:0xf bank_mask:0xf// 00000000224C: 160808FA FF011404
	s_nop 1                                                    // 000000002254: BF800001
	v_max_f32_dpp v4, v4, v4 row_shr:8 row_mask:0xf bank_mask:0xf// 000000002258: 160808FA FF011804
	s_nop 1                                                    // 000000002260: BF800001
	v_max_f32_dpp v4, v4, v4 row_bcast:15 row_mask:0xf bank_mask:0xf// 000000002264: 160808FA FF014204
	s_nop 1                                                    // 00000000226C: BF800001
	v_max_f32_dpp v4, v4, v4 row_bcast:31 row_mask:0xf bank_mask:0xf// 000000002270: 160808FA FF014304
	s_nop 0                                                    // 000000002278: BF800000
	v_readlane_b32 s20, v4, 63                                 // 00000000227C: D2890014 00017F04
	v_mov_b32_e32 v17, s20                                     // 000000002284: 7E220214
	v_add_f32_e32 v19, v19, v17                                // 000000002288: 02262313
	v_cmp_eq_f32_e64 s[24:25], v17, v11                        // 00000000228C: D0420018 00021711
	v_cmp_eq_f32_e64 s[26:27], v17, v12                        // 000000002294: D042001A 00021911
	s_ff1_i32_b64 s28, s[24:25]                                // 00000000229C: BE9C1118
	s_ff1_i32_b64 s29, s[26:27]                                // 0000000022A0: BE9D111A
	v_readlane_b32 s20, v17, 0                                 // 0000000022A4: D2890014 00010111
	v_writelane_b32 v14, s20, 1                                // 0000000022AC: D28A000E 00010214
	s_mov_b32 s22, s28                                         // 0000000022B4: BE96001C
	s_cmp_eq_u32 s28, -1                                       // 0000000022B8: BF06C11C
	s_cselect_b32 s21, 1, 0                                    // 0000000022BC: 85158081
	s_cbranch_scc0 label_01B7                                  // 0000000022C0: BF840006
	s_add_u32 s33, s21, s33                                    // 0000000022C4: 80212115
	s_mov_b32 s22, s29                                         // 0000000022C8: BE96001D
	s_cmp_eq_u32 s29, -1                                       // 0000000022CC: BF06C11D
	s_cselect_b32 s21, 1, 0                                    // 0000000022D0: 85158081
	s_cbranch_scc0 label_01B7                                  // 0000000022D4: BF840001
	s_add_u32 s33, s21, s33                                    // 0000000022D8: 80212115

00000000000022dc <label_01B7>:
	s_set_gpr_idx_on s33, gpr_idx(DST)                         // 0000000022DC: BF110821
	v_writelane_b32 v11, 0, s22                                // 0000000022E0: D28A000B 00002C80
	s_set_gpr_idx_off                                          // 0000000022E8: BF9C0000
	s_mul_i32 s33, 64, s33                                     // 0000000022EC: 922121C0
	s_add_u32 s33, s22, s33                                    // 0000000022F0: 80212116
	v_writelane_b32 v13, s33, 1                                // 0000000022F4: D28A000D 00010221
	v_max_f32_e32 v17, v11, v12                                // 0000000022FC: 1622190B
	s_nop 1                                                    // 000000002300: BF800001
	v_max_f32_dpp v4, v17, v17 quad_perm:[1,0,3,2] row_mask:0xf bank_mask:0xf// 000000002304: 160822FA FF00B111
	s_nop 1                                                    // 00000000230C: BF800001
	v_max_f32_dpp v4, v4, v4 quad_perm:[2,3,0,1] row_mask:0xf bank_mask:0xf// 000000002310: 160808FA FF004E04
	s_nop 1                                                    // 000000002318: BF800001
	v_max_f32_dpp v4, v4, v4 row_shr:4 row_mask:0xf bank_mask:0xf// 00000000231C: 160808FA FF011404
	s_nop 1                                                    // 000000002324: BF800001
	v_max_f32_dpp v4, v4, v4 row_shr:8 row_mask:0xf bank_mask:0xf// 000000002328: 160808FA FF011804
	s_nop 1                                                    // 000000002330: BF800001
	v_max_f32_dpp v4, v4, v4 row_bcast:15 row_mask:0xf bank_mask:0xf// 000000002334: 160808FA FF014204
	s_nop 1                                                    // 00000000233C: BF800001
	v_max_f32_dpp v4, v4, v4 row_bcast:31 row_mask:0xf bank_mask:0xf// 000000002340: 160808FA FF014304
	s_nop 0                                                    // 000000002348: BF800000
	v_readlane_b32 s20, v4, 63                                 // 00000000234C: D2890014 00017F04
	v_mov_b32_e32 v17, s20                                     // 000000002354: 7E220214
	v_add_f32_e32 v19, v19, v17                                // 000000002358: 02262313
	v_cmp_eq_f32_e64 s[24:25], v17, v11                        // 00000000235C: D0420018 00021711
	v_cmp_eq_f32_e64 s[26:27], v17, v12                        // 000000002364: D042001A 00021911
	s_ff1_i32_b64 s28, s[24:25]                                // 00000000236C: BE9C1118
	s_ff1_i32_b64 s29, s[26:27]                                // 000000002370: BE9D111A
	v_readlane_b32 s20, v17, 0                                 // 000000002374: D2890014 00010111
	v_writelane_b32 v14, s20, 2                                // 00000000237C: D28A000E 00010414
	s_mov_b32 s22, s28                                         // 000000002384: BE96001C
	s_cmp_eq_u32 s28, -1                                       // 000000002388: BF06C11C
	s_cselect_b32 s21, 1, 0                                    // 00000000238C: 85158081
	s_cbranch_scc0 label_01EB                                  // 000000002390: BF840006
	s_add_u32 s34, s21, s34                                    // 000000002394: 80222215
	s_mov_b32 s22, s29                                         // 000000002398: BE96001D
	s_cmp_eq_u32 s29, -1                                       // 00000000239C: BF06C11D
	s_cselect_b32 s21, 1, 0                                    // 0000000023A0: 85158081
	s_cbranch_scc0 label_01EB                                  // 0000000023A4: BF840001
	s_add_u32 s34, s21, s34                                    // 0000000023A8: 80222215

00000000000023ac <label_01EB>:
	s_set_gpr_idx_on s34, gpr_idx(DST)                         // 0000000023AC: BF110822
	v_writelane_b32 v11, 0, s22                                // 0000000023B0: D28A000B 00002C80
	s_set_gpr_idx_off                                          // 0000000023B8: BF9C0000
	s_mul_i32 s34, 64, s34                                     // 0000000023BC: 922222C0
	s_add_u32 s34, s22, s34                                    // 0000000023C0: 80222216
	v_writelane_b32 v13, s34, 2                                // 0000000023C4: D28A000D 00010422
	v_max_f32_e32 v17, v11, v12                                // 0000000023CC: 1622190B
	s_nop 1                                                    // 0000000023D0: BF800001
	v_max_f32_dpp v4, v17, v17 quad_perm:[1,0,3,2] row_mask:0xf bank_mask:0xf// 0000000023D4: 160822FA FF00B111
	s_nop 1                                                    // 0000000023DC: BF800001
	v_max_f32_dpp v4, v4, v4 quad_perm:[2,3,0,1] row_mask:0xf bank_mask:0xf// 0000000023E0: 160808FA FF004E04
	s_nop 1                                                    // 0000000023E8: BF800001
	v_max_f32_dpp v4, v4, v4 row_shr:4 row_mask:0xf bank_mask:0xf// 0000000023EC: 160808FA FF011404
	s_nop 1                                                    // 0000000023F4: BF800001
	v_max_f32_dpp v4, v4, v4 row_shr:8 row_mask:0xf bank_mask:0xf// 0000000023F8: 160808FA FF011804
	s_nop 1                                                    // 000000002400: BF800001
	v_max_f32_dpp v4, v4, v4 row_bcast:15 row_mask:0xf bank_mask:0xf// 000000002404: 160808FA FF014204
	s_nop 1                                                    // 00000000240C: BF800001
	v_max_f32_dpp v4, v4, v4 row_bcast:31 row_mask:0xf bank_mask:0xf// 000000002410: 160808FA FF014304
	s_nop 0                                                    // 000000002418: BF800000
	v_readlane_b32 s20, v4, 63                                 // 00000000241C: D2890014 00017F04
	v_mov_b32_e32 v17, s20                                     // 000000002424: 7E220214
	v_add_f32_e32 v19, v19, v17                                // 000000002428: 02262313
	v_cmp_eq_f32_e64 s[24:25], v17, v11                        // 00000000242C: D0420018 00021711
	v_cmp_eq_f32_e64 s[26:27], v17, v12                        // 000000002434: D042001A 00021911
	s_ff1_i32_b64 s28, s[24:25]                                // 00000000243C: BE9C1118
	s_ff1_i32_b64 s29, s[26:27]                                // 000000002440: BE9D111A
	v_readlane_b32 s20, v17, 0                                 // 000000002444: D2890014 00010111
	v_writelane_b32 v14, s20, 3                                // 00000000244C: D28A000E 00010614
	s_mov_b32 s22, s28                                         // 000000002454: BE96001C
	s_cmp_eq_u32 s28, -1                                       // 000000002458: BF06C11C
	s_cselect_b32 s21, 1, 0                                    // 00000000245C: 85158081
	s_cbranch_scc0 label_021F                                  // 000000002460: BF840006
	s_add_u32 s35, s21, s35                                    // 000000002464: 80232315
	s_mov_b32 s22, s29                                         // 000000002468: BE96001D
	s_cmp_eq_u32 s29, -1                                       // 00000000246C: BF06C11D
	s_cselect_b32 s21, 1, 0                                    // 000000002470: 85158081
	s_cbranch_scc0 label_021F                                  // 000000002474: BF840001
	s_add_u32 s35, s21, s35                                    // 000000002478: 80232315

000000000000247c <label_021F>:
	s_set_gpr_idx_on s35, gpr_idx(DST)                         // 00000000247C: BF110823
	v_writelane_b32 v11, 0, s22                                // 000000002480: D28A000B 00002C80
	s_set_gpr_idx_off                                          // 000000002488: BF9C0000
	s_mul_i32 s35, 64, s35                                     // 00000000248C: 922323C0
	s_add_u32 s35, s22, s35                                    // 000000002490: 80232316
	v_writelane_b32 v13, s35, 3                                // 000000002494: D28A000D 00010623
	s_bfm_b64 exec, s18, 0                                     // 00000000249C: 91FE8012
	buffer_store_dword v13, v9, s[4:7], 0 offen                // 0000000024A0: E0701000 80010D09
	v_rcp_f32_e32 v19, v19                                     // 0000000024A8: 7E264513
	s_nop 0                                                    // 0000000024AC: BF800000
	v_mul_f32_e32 v14, v14, v19                                // 0000000024B0: 0A1C270E
	buffer_store_dword v14, v10, s[8:11], 0 offen              // 0000000024B4: E0701000 80020E0A

00000000000024bc <label_022F>:
	s_waitcnt vmcnt(0) expcnt(0) lgkmcnt(0)                    // 0000000024BC: BF8C0000
	s_endpgm                                                   // 0000000024C0: BF810000
